;; amdgpu-corpus repo=ROCm/rocFFT kind=compiled arch=gfx950 opt=O3
	.text
	.amdgcn_target "amdgcn-amd-amdhsa--gfx950"
	.amdhsa_code_object_version 6
	.protected	fft_rtc_back_len1296_factors_6_6_6_6_wgs_108_tpt_108_halfLds_sp_op_CI_CI_unitstride_sbrr_R2C_dirReg ; -- Begin function fft_rtc_back_len1296_factors_6_6_6_6_wgs_108_tpt_108_halfLds_sp_op_CI_CI_unitstride_sbrr_R2C_dirReg
	.globl	fft_rtc_back_len1296_factors_6_6_6_6_wgs_108_tpt_108_halfLds_sp_op_CI_CI_unitstride_sbrr_R2C_dirReg
	.p2align	8
	.type	fft_rtc_back_len1296_factors_6_6_6_6_wgs_108_tpt_108_halfLds_sp_op_CI_CI_unitstride_sbrr_R2C_dirReg,@function
fft_rtc_back_len1296_factors_6_6_6_6_wgs_108_tpt_108_halfLds_sp_op_CI_CI_unitstride_sbrr_R2C_dirReg: ; @fft_rtc_back_len1296_factors_6_6_6_6_wgs_108_tpt_108_halfLds_sp_op_CI_CI_unitstride_sbrr_R2C_dirReg
; %bb.0:
	s_load_dwordx4 s[4:7], s[0:1], 0x58
	s_load_dwordx4 s[8:11], s[0:1], 0x0
	;; [unrolled: 1-line block ×3, first 2 shown]
	v_mul_u32_u24_e32 v1, 0x25f, v0
	v_add_u32_sdwa v8, s2, v1 dst_sel:DWORD dst_unused:UNUSED_PAD src0_sel:DWORD src1_sel:WORD_1
	v_mov_b32_e32 v6, 0
	s_waitcnt lgkmcnt(0)
	v_cmp_lt_u64_e64 s[2:3], s[10:11], 2
	v_mov_b32_e32 v9, v6
	s_and_b64 vcc, exec, s[2:3]
	v_mov_b64_e32 v[10:11], 0
	s_cbranch_vccnz .LBB0_8
; %bb.1:
	s_load_dwordx2 s[2:3], s[0:1], 0x10
	s_add_u32 s16, s14, 8
	s_addc_u32 s17, s15, 0
	s_add_u32 s18, s12, 8
	s_addc_u32 s19, s13, 0
	s_waitcnt lgkmcnt(0)
	s_add_u32 s20, s2, 8
	v_mov_b64_e32 v[10:11], 0
	s_addc_u32 s21, s3, 0
	s_mov_b64 s[22:23], 1
	v_mov_b64_e32 v[2:3], v[10:11]
.LBB0_2:                                ; =>This Inner Loop Header: Depth=1
	s_load_dwordx2 s[24:25], s[20:21], 0x0
                                        ; implicit-def: $vgpr4_vgpr5
	s_waitcnt lgkmcnt(0)
	v_or_b32_e32 v7, s25, v9
	v_cmp_ne_u64_e32 vcc, 0, v[6:7]
	s_and_saveexec_b64 s[2:3], vcc
	s_xor_b64 s[26:27], exec, s[2:3]
	s_cbranch_execz .LBB0_4
; %bb.3:                                ;   in Loop: Header=BB0_2 Depth=1
	v_cvt_f32_u32_e32 v1, s24
	v_cvt_f32_u32_e32 v4, s25
	s_sub_u32 s2, 0, s24
	s_subb_u32 s3, 0, s25
	v_fmac_f32_e32 v1, 0x4f800000, v4
	v_rcp_f32_e32 v1, v1
	s_nop 0
	v_mul_f32_e32 v1, 0x5f7ffffc, v1
	v_mul_f32_e32 v4, 0x2f800000, v1
	v_trunc_f32_e32 v4, v4
	v_fmac_f32_e32 v1, 0xcf800000, v4
	v_cvt_u32_f32_e32 v7, v4
	v_cvt_u32_f32_e32 v1, v1
	v_mul_lo_u32 v4, s2, v7
	v_mul_hi_u32 v12, s2, v1
	v_mul_lo_u32 v5, s3, v1
	v_add_u32_e32 v12, v12, v4
	v_mul_lo_u32 v14, s2, v1
	v_add_u32_e32 v15, v12, v5
	v_mul_hi_u32 v4, v1, v14
	v_mul_hi_u32 v13, v1, v15
	v_mul_lo_u32 v12, v1, v15
	v_mov_b32_e32 v5, v6
	v_lshl_add_u64 v[4:5], v[4:5], 0, v[12:13]
	v_mul_hi_u32 v13, v7, v14
	v_mul_lo_u32 v14, v7, v14
	v_add_co_u32_e32 v4, vcc, v4, v14
	v_mul_hi_u32 v12, v7, v15
	s_nop 0
	v_addc_co_u32_e32 v4, vcc, v5, v13, vcc
	v_mov_b32_e32 v5, v6
	s_nop 0
	v_addc_co_u32_e32 v13, vcc, 0, v12, vcc
	v_mul_lo_u32 v12, v7, v15
	v_lshl_add_u64 v[4:5], v[4:5], 0, v[12:13]
	v_add_co_u32_e32 v1, vcc, v1, v4
	v_mul_lo_u32 v12, s2, v1
	s_nop 0
	v_addc_co_u32_e32 v7, vcc, v7, v5, vcc
	v_mul_lo_u32 v4, s2, v7
	v_mul_hi_u32 v5, s2, v1
	v_add_u32_e32 v4, v5, v4
	v_mul_lo_u32 v5, s3, v1
	v_add_u32_e32 v14, v4, v5
	v_mul_hi_u32 v16, v7, v12
	v_mul_lo_u32 v17, v7, v12
	v_mul_hi_u32 v5, v1, v14
	v_mul_lo_u32 v4, v1, v14
	v_mul_hi_u32 v12, v1, v12
	v_mov_b32_e32 v13, v6
	v_lshl_add_u64 v[4:5], v[12:13], 0, v[4:5]
	v_add_co_u32_e32 v4, vcc, v4, v17
	v_mul_hi_u32 v15, v7, v14
	s_nop 0
	v_addc_co_u32_e32 v4, vcc, v5, v16, vcc
	v_mul_lo_u32 v12, v7, v14
	s_nop 0
	v_addc_co_u32_e32 v13, vcc, 0, v15, vcc
	v_mov_b32_e32 v5, v6
	v_lshl_add_u64 v[4:5], v[4:5], 0, v[12:13]
	v_add_co_u32_e32 v1, vcc, v1, v4
	v_mul_hi_u32 v12, v8, v1
	s_nop 0
	v_addc_co_u32_e32 v7, vcc, v7, v5, vcc
	v_mad_u64_u32 v[4:5], s[2:3], v8, v7, 0
	v_mov_b32_e32 v13, v6
	v_lshl_add_u64 v[4:5], v[12:13], 0, v[4:5]
	v_mad_u64_u32 v[14:15], s[2:3], v9, v1, 0
	v_add_co_u32_e32 v1, vcc, v4, v14
	v_mad_u64_u32 v[12:13], s[2:3], v9, v7, 0
	s_nop 0
	v_addc_co_u32_e32 v4, vcc, v5, v15, vcc
	v_mov_b32_e32 v5, v6
	s_nop 0
	v_addc_co_u32_e32 v13, vcc, 0, v13, vcc
	v_lshl_add_u64 v[4:5], v[4:5], 0, v[12:13]
	v_mul_lo_u32 v1, s25, v4
	v_mul_lo_u32 v7, s24, v5
	v_mad_u64_u32 v[12:13], s[2:3], s24, v4, 0
	v_add3_u32 v1, v13, v7, v1
	v_sub_u32_e32 v7, v9, v1
	v_mov_b32_e32 v13, s25
	v_sub_co_u32_e32 v16, vcc, v8, v12
	v_lshl_add_u64 v[14:15], v[4:5], 0, 1
	s_nop 0
	v_subb_co_u32_e64 v7, s[2:3], v7, v13, vcc
	v_subrev_co_u32_e64 v12, s[2:3], s24, v16
	v_subb_co_u32_e32 v1, vcc, v9, v1, vcc
	s_nop 0
	v_subbrev_co_u32_e64 v7, s[2:3], 0, v7, s[2:3]
	v_cmp_le_u32_e64 s[2:3], s25, v7
	v_cmp_le_u32_e32 vcc, s25, v1
	s_nop 0
	v_cndmask_b32_e64 v13, 0, -1, s[2:3]
	v_cmp_le_u32_e64 s[2:3], s24, v12
	s_nop 1
	v_cndmask_b32_e64 v12, 0, -1, s[2:3]
	v_cmp_eq_u32_e64 s[2:3], s25, v7
	s_nop 1
	v_cndmask_b32_e64 v7, v13, v12, s[2:3]
	v_lshl_add_u64 v[12:13], v[4:5], 0, 2
	v_cmp_ne_u32_e64 s[2:3], 0, v7
	s_nop 1
	v_cndmask_b32_e64 v7, v15, v13, s[2:3]
	v_cndmask_b32_e64 v13, 0, -1, vcc
	v_cmp_le_u32_e32 vcc, s24, v16
	s_nop 1
	v_cndmask_b32_e64 v15, 0, -1, vcc
	v_cmp_eq_u32_e32 vcc, s25, v1
	s_nop 1
	v_cndmask_b32_e32 v1, v13, v15, vcc
	v_cmp_ne_u32_e32 vcc, 0, v1
	v_cndmask_b32_e64 v1, v14, v12, s[2:3]
	s_nop 0
	v_cndmask_b32_e32 v5, v5, v7, vcc
	v_cndmask_b32_e32 v4, v4, v1, vcc
.LBB0_4:                                ;   in Loop: Header=BB0_2 Depth=1
	s_andn2_saveexec_b64 s[2:3], s[26:27]
	s_cbranch_execz .LBB0_6
; %bb.5:                                ;   in Loop: Header=BB0_2 Depth=1
	v_cvt_f32_u32_e32 v1, s24
	s_sub_i32 s26, 0, s24
	v_rcp_iflag_f32_e32 v1, v1
	s_nop 0
	v_mul_f32_e32 v1, 0x4f7ffffe, v1
	v_cvt_u32_f32_e32 v1, v1
	v_mul_lo_u32 v4, s26, v1
	v_mul_hi_u32 v4, v1, v4
	v_add_u32_e32 v1, v1, v4
	v_mul_hi_u32 v1, v8, v1
	v_mul_lo_u32 v4, v1, s24
	v_sub_u32_e32 v4, v8, v4
	v_add_u32_e32 v5, 1, v1
	v_subrev_u32_e32 v7, s24, v4
	v_cmp_le_u32_e32 vcc, s24, v4
	s_nop 1
	v_cndmask_b32_e32 v4, v4, v7, vcc
	v_cndmask_b32_e32 v1, v1, v5, vcc
	v_add_u32_e32 v5, 1, v1
	v_cmp_le_u32_e32 vcc, s24, v4
	s_nop 1
	v_cndmask_b32_e32 v4, v1, v5, vcc
	v_mov_b32_e32 v5, v6
.LBB0_6:                                ;   in Loop: Header=BB0_2 Depth=1
	s_or_b64 exec, exec, s[2:3]
	v_mad_u64_u32 v[12:13], s[2:3], v4, s24, 0
	s_load_dwordx2 s[2:3], s[18:19], 0x0
	v_mul_lo_u32 v1, v5, s24
	v_mul_lo_u32 v7, v4, s25
	s_load_dwordx2 s[24:25], s[16:17], 0x0
	s_add_u32 s22, s22, 1
	v_add3_u32 v1, v13, v7, v1
	v_sub_co_u32_e32 v7, vcc, v8, v12
	s_addc_u32 s23, s23, 0
	s_nop 0
	v_subb_co_u32_e32 v1, vcc, v9, v1, vcc
	s_add_u32 s16, s16, 8
	s_waitcnt lgkmcnt(0)
	v_mul_lo_u32 v8, s2, v1
	v_mul_lo_u32 v9, s3, v7
	v_mad_u64_u32 v[10:11], s[2:3], s2, v7, v[10:11]
	s_addc_u32 s17, s17, 0
	v_add3_u32 v11, v9, v11, v8
	v_mul_lo_u32 v1, s24, v1
	v_mul_lo_u32 v8, s25, v7
	v_mad_u64_u32 v[2:3], s[2:3], s24, v7, v[2:3]
	s_add_u32 s18, s18, 8
	v_add3_u32 v3, v8, v3, v1
	s_addc_u32 s19, s19, 0
	v_mov_b64_e32 v[8:9], s[10:11]
	s_add_u32 s20, s20, 8
	v_cmp_ge_u64_e32 vcc, s[22:23], v[8:9]
	s_addc_u32 s21, s21, 0
	s_cbranch_vccnz .LBB0_9
; %bb.7:                                ;   in Loop: Header=BB0_2 Depth=1
	v_mov_b64_e32 v[8:9], v[4:5]
	s_branch .LBB0_2
.LBB0_8:
	v_mov_b64_e32 v[2:3], v[10:11]
	v_mov_b64_e32 v[4:5], v[8:9]
.LBB0_9:
	s_load_dwordx2 s[18:19], s[0:1], 0x28
	s_lshl_b64 s[16:17], s[10:11], 3
	s_add_u32 s2, s14, s16
	s_addc_u32 s3, s15, s17
                                        ; implicit-def: $vgpr6
                                        ; implicit-def: $vgpr8
	s_waitcnt lgkmcnt(0)
	v_cmp_gt_u64_e64 s[0:1], s[18:19], v[4:5]
	v_cmp_le_u64_e32 vcc, s[18:19], v[4:5]
	s_and_saveexec_b64 s[10:11], vcc
	s_xor_b64 s[10:11], exec, s[10:11]
; %bb.10:
	s_mov_b32 s14, 0x25ed098
	v_mul_hi_u32 v1, v0, s14
	v_mul_u32_u24_e32 v1, 0x6c, v1
	v_sub_u32_e32 v6, v0, v1
	v_add_u32_e32 v8, 0x6c, v6
                                        ; implicit-def: $vgpr0
                                        ; implicit-def: $vgpr10_vgpr11
; %bb.11:
	s_andn2_saveexec_b64 s[10:11], s[10:11]
	s_cbranch_execz .LBB0_13
; %bb.12:
	s_add_u32 s12, s12, s16
	s_addc_u32 s13, s13, s17
	s_load_dwordx2 s[12:13], s[12:13], 0x0
	s_mov_b32 s14, 0x25ed098
	s_waitcnt lgkmcnt(0)
	v_mul_lo_u32 v1, s13, v4
	v_mul_lo_u32 v6, s12, v5
	v_mad_u64_u32 v[8:9], s[12:13], s12, v4, 0
	v_add3_u32 v9, v9, v6, v1
	v_mul_hi_u32 v1, v0, s14
	v_mul_u32_u24_e32 v1, 0x6c, v1
	v_sub_u32_e32 v6, v0, v1
	v_lshl_add_u64 v[0:1], v[8:9], 3, s[4:5]
	v_lshl_add_u64 v[0:1], v[10:11], 3, v[0:1]
	v_lshlrev_b32_e32 v10, 3, v6
	v_mov_b32_e32 v11, 0
	v_lshl_add_u64 v[0:1], v[0:1], 0, v[10:11]
	s_movk_i32 s4, 0x1000
	v_add_co_u32_e32 v8, vcc, s4, v0
	global_load_dwordx2 v[12:13], v[0:1], off
	global_load_dwordx2 v[14:15], v[0:1], off offset:864
	global_load_dwordx2 v[16:17], v[0:1], off offset:1728
	;; [unrolled: 1-line block ×3, first 2 shown]
	v_addc_co_u32_e32 v9, vcc, 0, v1, vcc
	global_load_dwordx2 v[20:21], v[0:1], off offset:3456
	global_load_dwordx2 v[22:23], v[8:9], off offset:224
	;; [unrolled: 1-line block ×4, first 2 shown]
	v_add_co_u32_e32 v0, vcc, 0x2000, v0
	s_nop 1
	v_addc_co_u32_e32 v1, vcc, 0, v1, vcc
	global_load_dwordx2 v[28:29], v[8:9], off offset:2816
	global_load_dwordx2 v[30:31], v[8:9], off offset:3680
	;; [unrolled: 1-line block ×4, first 2 shown]
	v_add_u32_e32 v0, 0, v10
	v_add_u32_e32 v8, 0x6c, v6
	;; [unrolled: 1-line block ×6, first 2 shown]
	s_waitcnt vmcnt(10)
	ds_write2_b64 v0, v[12:13], v[14:15] offset1:108
	s_waitcnt vmcnt(8)
	ds_write2_b64 v1, v[16:17], v[18:19] offset0:88 offset1:196
	s_waitcnt vmcnt(6)
	ds_write2_b64 v7, v[20:21], v[22:23] offset0:48 offset1:156
	;; [unrolled: 2-line block ×4, first 2 shown]
	v_add_u32_e32 v0, 0x2000, v0
	s_waitcnt vmcnt(0)
	ds_write2_b64 v0, v[32:33], v[34:35] offset0:56 offset1:164
.LBB0_13:
	s_or_b64 exec, exec, s[10:11]
	v_lshlrev_b32_e32 v7, 3, v6
	v_add_u32_e32 v18, 0, v7
	v_mul_i32_i24_e32 v0, 6, v8
	v_lshl_add_u32 v19, v0, 3, 0
	v_add_u32_e32 v0, 0xc00, v18
	s_load_dwordx2 s[2:3], s[2:3], 0x0
	s_waitcnt lgkmcnt(0)
	s_barrier
	ds_read2_b64 v[14:17], v0 offset0:48 offset1:156
	v_add_u32_e32 v0, 0x1800, v18
	ds_read2_b64 v[24:27], v0 offset0:96 offset1:204
	v_add_u32_e32 v0, 0x2000, v18
	v_add_u32_e32 v9, 0x1000, v18
	ds_read2_b64 v[28:31], v0 offset0:56 offset1:164
	v_add_u32_e32 v0, 0x400, v18
	ds_read2_b64 v[20:23], v9 offset0:136 offset1:244
	ds_read2_b64 v[32:35], v0 offset0:88 offset1:196
	ds_read2_b64 v[10:13], v18 offset1:108
	s_mov_b32 s10, 0x3f5db3d7
	s_waitcnt lgkmcnt(4)
	v_pk_add_f32 v[50:51], v[14:15], v[24:25]
	s_waitcnt lgkmcnt(2)
	v_pk_add_f32 v[44:45], v[20:21], v[28:29]
	v_pk_add_f32 v[46:47], v[20:21], v[28:29] neg_lo:[0,1] neg_hi:[0,1]
	s_waitcnt lgkmcnt(1)
	v_pk_add_f32 v[20:21], v[32:33], v[20:21]
	s_waitcnt lgkmcnt(0)
	v_pk_add_f32 v[42:43], v[10:11], v[14:15]
	v_pk_add_f32 v[20:21], v[20:21], v[28:29]
	v_fma_f32 v28, -0.5, v45, v33
	v_pk_add_f32 v[14:15], v[14:15], v[24:25] neg_lo:[0,1] neg_hi:[0,1]
	s_mov_b32 s12, 0.5
	v_fma_f32 v44, -0.5, v44, v32
	v_fmamk_f32 v32, v46, 0x3f5db3d7, v28
	v_pk_mul_f32 v[14:15], v[14:15], s[10:11] op_sel_hi:[1,0]
	s_mov_b32 s11, s12
	v_fmamk_f32 v48, v47, 0xbf5db3d7, v44
	v_fmac_f32_e32 v28, 0xbf5db3d7, v46
	v_pk_fma_f32 v[10:11], v[50:51], 0.5, v[10:11] op_sel_hi:[1,0,1] neg_lo:[1,0,0] neg_hi:[1,0,0]
	s_mov_b32 s13, s10
	v_pk_mul_f32 v[32:33], v[32:33], s[10:11] op_sel_hi:[0,1]
	s_mov_b32 s4, -0.5
	v_pk_add_f32 v[42:43], v[42:43], v[24:25]
	v_fmac_f32_e32 v44, 0x3f5db3d7, v47
	v_pk_add_f32 v[24:25], v[10:11], v[14:15] op_sel:[0,1] op_sel_hi:[1,0] neg_lo:[0,1] neg_hi:[0,1]
	v_pk_add_f32 v[10:11], v[10:11], v[14:15] op_sel:[0,1] op_sel_hi:[1,0]
	v_pk_fma_f32 v[50:51], v[48:49], s[12:13], v[32:33] neg_lo:[0,0,1] neg_hi:[0,0,1]
	v_pk_fma_f32 v[32:33], v[48:49], s[12:13], v[32:33] op_sel_hi:[0,1,1]
	s_mov_b32 s5, s10
	v_pk_mul_f32 v[28:29], v[28:29], s[10:11] op_sel_hi:[0,1]
	v_mov_b32_e32 v14, v24
	v_mov_b32_e32 v15, v11
	;; [unrolled: 1-line block ×3, first 2 shown]
	v_pk_fma_f32 v[28:29], v[44:45], s[4:5], v[28:29] op_sel_hi:[0,1,1] neg_lo:[0,0,1] neg_hi:[0,0,1]
	v_mov_b32_e32 v11, v25
	v_mad_u32_u24 v41, v6, 40, v18
	v_pk_add_f32 v[36:37], v[22:23], v[30:31]
	v_pk_add_f32 v[38:39], v[22:23], v[30:31] neg_lo:[0,1] neg_hi:[0,1]
	v_pk_add_f32 v[22:23], v[34:35], v[22:23]
	v_pk_add_f32 v[32:33], v[14:15], v[50:51]
	;; [unrolled: 1-line block ×3, first 2 shown]
	v_pk_add_f32 v[14:15], v[14:15], v[50:51] neg_lo:[0,1] neg_hi:[0,1]
	v_pk_add_f32 v[10:11], v[10:11], v[28:29] neg_lo:[0,1] neg_hi:[0,1]
	v_pk_add_f32 v[22:23], v[22:23], v[30:31]
	v_fma_f32 v30, -0.5, v37, v35
	s_barrier
	ds_write2_b64 v41, v[14:15], v[10:11] offset0:4 offset1:5
	v_pk_add_f32 v[10:11], v[16:17], v[26:27]
	v_pk_add_f32 v[0:1], v[12:13], v[16:17]
	v_fma_f32 v36, -0.5, v36, v34
	v_fmamk_f32 v34, v38, 0x3f5db3d7, v30
	v_pk_fma_f32 v[10:11], v[10:11], 0.5, v[12:13] op_sel_hi:[1,0,1] neg_lo:[1,0,0] neg_hi:[1,0,0]
	v_pk_add_f32 v[12:13], v[16:17], v[26:27] neg_lo:[0,1] neg_hi:[0,1]
	v_fmamk_f32 v40, v39, 0xbf5db3d7, v36
	v_pk_add_f32 v[46:47], v[42:43], v[20:21]
	v_pk_add_f32 v[20:21], v[42:43], v[20:21] neg_lo:[0,1] neg_hi:[0,1]
	v_pk_mul_f32 v[12:13], v[12:13], s[10:11] op_sel_hi:[1,0]
	v_pk_mul_f32 v[16:17], v[34:35], s[10:11] op_sel_hi:[0,1]
	ds_write2_b64 v41, v[24:25], v[20:21] offset0:2 offset1:3
	v_pk_add_f32 v[14:15], v[10:11], v[12:13] op_sel:[0,1] op_sel_hi:[1,0] neg_lo:[0,1] neg_hi:[0,1]
	v_pk_add_f32 v[10:11], v[10:11], v[12:13] op_sel:[0,1] op_sel_hi:[1,0]
	v_pk_fma_f32 v[20:21], v[40:41], s[12:13], v[16:17] neg_lo:[0,0,1] neg_hi:[0,0,1]
	v_pk_fma_f32 v[16:17], v[40:41], s[12:13], v[16:17] op_sel_hi:[0,1,1]
	v_pk_add_f32 v[0:1], v[0:1], v[26:27]
	v_mov_b32_e32 v12, v14
	v_mov_b32_e32 v13, v11
	;; [unrolled: 1-line block ×3, first 2 shown]
	v_fmac_f32_e32 v36, 0x3f5db3d7, v39
	v_fmac_f32_e32 v30, 0xbf5db3d7, v38
	v_pk_add_f32 v[38:39], v[0:1], v[22:23]
	v_pk_add_f32 v[16:17], v[12:13], v[20:21]
	ds_write2_b64 v41, v[46:47], v[32:33] offset1:1
	ds_write2_b64 v19, v[38:39], v[16:17] offset1:1
	v_pk_mul_f32 v[16:17], v[30:31], s[10:11] op_sel_hi:[0,1]
	v_pk_fma_f32 v[16:17], v[36:37], s[4:5], v[16:17] op_sel_hi:[0,1,1] neg_lo:[0,0,1] neg_hi:[0,0,1]
	v_mov_b32_e32 v11, v15
	v_pk_add_f32 v[14:15], v[10:11], v[16:17]
	v_pk_add_f32 v[0:1], v[0:1], v[22:23] neg_lo:[0,1] neg_hi:[0,1]
	ds_write2_b64 v19, v[14:15], v[0:1] offset0:2 offset1:3
	v_pk_add_f32 v[0:1], v[12:13], v[20:21] neg_lo:[0,1] neg_hi:[0,1]
	v_pk_add_f32 v[10:11], v[10:11], v[16:17] neg_lo:[0,1] neg_hi:[0,1]
	s_movk_i32 s14, 0xab
	ds_write2_b64 v19, v[0:1], v[10:11] offset0:4 offset1:5
	v_mul_lo_u16_sdwa v0, v8, s14 dst_sel:DWORD dst_unused:UNUSED_PAD src0_sel:BYTE_0 src1_sel:DWORD
	v_lshrrev_b16_e32 v50, 10, v0
	v_mul_lo_u16_e32 v0, 6, v50
	v_mov_b32_e32 v56, 5
	v_sub_u16_e32 v51, v8, v0
	v_mul_u32_u24_sdwa v0, v51, v56 dst_sel:DWORD dst_unused:UNUSED_PAD src0_sel:BYTE_0 src1_sel:DWORD
	v_lshlrev_b32_e32 v10, 3, v0
	s_waitcnt lgkmcnt(0)
	s_barrier
	global_load_dwordx4 v[14:17], v10, s[8:9]
	v_mul_lo_u16_sdwa v0, v6, s14 dst_sel:DWORD dst_unused:UNUSED_PAD src0_sel:BYTE_0 src1_sel:DWORD
	v_lshrrev_b16_e32 v52, 10, v0
	v_mul_lo_u16_e32 v0, 6, v52
	v_sub_u16_e32 v53, v6, v0
	v_mul_u32_u24_sdwa v0, v53, v56 dst_sel:DWORD dst_unused:UNUSED_PAD src0_sel:BYTE_0 src1_sel:DWORD
	v_lshlrev_b32_e32 v11, 3, v0
	global_load_dwordx4 v[20:23], v11, s[8:9] offset:16
	global_load_dwordx4 v[24:27], v10, s[8:9] offset:16
	global_load_dwordx2 v[0:1], v10, s[8:9] offset:32
	global_load_dwordx4 v[28:31], v11, s[8:9]
	global_load_dwordx2 v[48:49], v11, s[8:9] offset:32
	v_add_u32_e32 v11, 0x800, v18
	ds_read2_b64 v[32:35], v11 offset0:68 offset1:176
	ds_read2_b64 v[36:39], v9 offset0:28 offset1:136
	v_add_u32_e32 v12, 0x1400, v18
	v_mov_b32_e32 v57, 3
	ds_read2_b64 v[40:43], v12 offset0:116 offset1:224
	v_mul_u32_u24_e32 v50, 0x120, v50
	v_lshlrev_b32_sdwa v51, v57, v51 dst_sel:DWORD dst_unused:UNUSED_PAD src0_sel:DWORD src1_sel:BYTE_0
	v_mul_u32_u24_e32 v52, 0x120, v52
	v_lshlrev_b32_sdwa v53, v57, v53 dst_sel:DWORD dst_unused:UNUSED_PAD src0_sel:DWORD src1_sel:BYTE_0
	v_add3_u32 v59, 0, v50, v51
	v_add3_u32 v58, 0, v52, v53
	v_add_u32_e32 v13, 0x1c00, v18
	s_movk_i32 s14, 0xffd8
	ds_read2_b64 v[44:47], v13 offset0:76 offset1:184
	v_mad_i32_i24 v10, v8, s14, v19
	v_cmp_ne_u32_e32 vcc, 0, v6
	s_waitcnt vmcnt(5) lgkmcnt(3)
	v_pk_mul_f32 v[50:51], v[32:33], v[14:15] op_sel:[0,1]
	s_nop 0
	v_pk_fma_f32 v[52:53], v[32:33], v[14:15], v[50:51] op_sel:[0,0,1] op_sel_hi:[1,0,0]
	v_pk_fma_f32 v[32:33], v[32:33], v[14:15], v[50:51] op_sel:[0,0,1] op_sel_hi:[1,0,0] neg_lo:[0,0,1] neg_hi:[0,0,1]
	v_mov_b32_e32 v14, v17
	s_waitcnt lgkmcnt(2)
	v_pk_mul_f32 v[14:15], v[36:37], v[14:15] op_sel_hi:[1,0]
	v_mov_b32_e32 v53, v33
	v_pk_fma_f32 v[50:51], v[36:37], v[16:17], v[14:15] op_sel:[0,0,1] op_sel_hi:[1,1,0]
	v_pk_fma_f32 v[14:15], v[36:37], v[16:17], v[14:15] op_sel:[0,0,1] op_sel_hi:[1,0,0] neg_lo:[0,0,1] neg_hi:[0,0,1]
	s_waitcnt vmcnt(4)
	v_pk_mul_f32 v[16:17], v[20:21], v[38:39] op_sel:[0,1]
	s_waitcnt vmcnt(3)
	v_mov_b32_e32 v14, v27
	v_pk_fma_f32 v[36:37], v[20:21], v[38:39], v[16:17] op_sel:[0,0,1] op_sel_hi:[1,1,0]
	v_pk_fma_f32 v[20:21], v[20:21], v[38:39], v[16:17] op_sel:[0,0,1] op_sel_hi:[1,0,0] neg_lo:[1,0,0] neg_hi:[1,0,0]
	s_waitcnt lgkmcnt(1)
	v_pk_mul_f32 v[16:17], v[22:23], v[42:43] op_sel:[0,1]
	v_mov_b32_e32 v51, v15
	v_pk_fma_f32 v[38:39], v[22:23], v[42:43], v[16:17] op_sel:[0,0,1] op_sel_hi:[1,1,0]
	v_pk_fma_f32 v[22:23], v[22:23], v[42:43], v[16:17] op_sel:[0,0,1] op_sel_hi:[1,0,0] neg_lo:[1,0,0] neg_hi:[1,0,0]
	v_pk_mul_f32 v[16:17], v[40:41], v[24:25] op_sel:[0,1]
	s_waitcnt lgkmcnt(0)
	v_pk_mul_f32 v[14:15], v[44:45], v[14:15] op_sel_hi:[1,0]
	v_pk_fma_f32 v[42:43], v[40:41], v[24:25], v[16:17] op_sel:[0,0,1] op_sel_hi:[1,1,0]
	v_pk_fma_f32 v[16:17], v[40:41], v[24:25], v[16:17] op_sel:[0,0,1] op_sel_hi:[1,0,0] neg_lo:[0,0,1] neg_hi:[0,0,1]
	ds_read_b64 v[24:25], v10
	ds_read_b64 v[40:41], v18 offset:9504
	v_pk_fma_f32 v[54:55], v[44:45], v[26:27], v[14:15] op_sel:[0,0,1] op_sel_hi:[1,1,0]
	v_pk_fma_f32 v[26:27], v[44:45], v[26:27], v[14:15] op_sel:[0,0,1] op_sel_hi:[1,0,0] neg_lo:[0,0,1] neg_hi:[0,0,1]
	v_mov_b32_e32 v43, v17
	v_mov_b32_e32 v55, v27
	s_waitcnt vmcnt(2) lgkmcnt(0)
	v_pk_mul_f32 v[14:15], v[40:41], v[0:1] op_sel:[0,1]
	v_mov_b32_e32 v39, v23
	v_pk_fma_f32 v[44:45], v[40:41], v[0:1], v[14:15] op_sel:[0,0,1] op_sel_hi:[1,1,0]
	v_pk_fma_f32 v[0:1], v[40:41], v[0:1], v[14:15] op_sel:[0,0,1] op_sel_hi:[1,0,0] neg_lo:[0,0,1] neg_hi:[0,0,1]
	ds_read2_b64 v[14:17], v18 offset1:216
	v_mov_b32_e32 v45, v1
	s_waitcnt vmcnt(1)
	v_pk_mul_f32 v[0:1], v[30:31], v[34:35] op_sel:[0,1]
	s_waitcnt vmcnt(0)
	v_pk_mul_f32 v[22:23], v[48:49], v[46:47] op_sel:[0,1]
	v_pk_fma_f32 v[26:27], v[30:31], v[34:35], v[0:1] op_sel:[0,0,1] op_sel_hi:[1,1,0]
	v_pk_fma_f32 v[0:1], v[30:31], v[34:35], v[0:1] op_sel:[0,0,1] op_sel_hi:[1,0,0] neg_lo:[1,0,0] neg_hi:[1,0,0]
	s_waitcnt lgkmcnt(0)
	v_pk_mul_f32 v[30:31], v[28:29], v[16:17] op_sel:[0,1]
	v_pk_add_f32 v[40:41], v[42:43], v[44:45] neg_lo:[0,1] neg_hi:[0,1]
	v_pk_fma_f32 v[34:35], v[28:29], v[16:17], v[30:31] op_sel:[0,0,1] op_sel_hi:[1,0,0]
	v_pk_fma_f32 v[16:17], v[28:29], v[16:17], v[30:31] op_sel:[0,0,1] op_sel_hi:[1,0,0] neg_lo:[1,0,0] neg_hi:[1,0,0]
	v_pk_add_f32 v[28:29], v[42:43], v[44:45]
	v_pk_add_f32 v[30:31], v[52:53], v[42:43]
	v_pk_fma_f32 v[42:43], v[48:49], v[46:47], v[22:23] op_sel:[0,0,1] op_sel_hi:[1,1,0]
	v_pk_fma_f32 v[22:23], v[48:49], v[46:47], v[22:23] op_sel:[0,0,1] op_sel_hi:[1,0,0] neg_lo:[1,0,0] neg_hi:[1,0,0]
	v_mov_b32_e32 v37, v21
	v_mov_b32_e32 v43, v23
	v_pk_add_f32 v[30:31], v[30:31], v[44:45]
	v_mov_b32_e32 v35, v17
	v_pk_add_f32 v[44:45], v[36:37], v[42:43]
	v_mov_b32_e32 v32, v34
	v_mov_b32_e32 v27, v1
	v_fmac_f32_e32 v32, -0.5, v44
	v_pk_add_f32 v[46:47], v[36:37], v[42:43] neg_lo:[0,1] neg_hi:[0,1]
	v_pk_add_f32 v[34:35], v[34:35], v[36:37]
	v_fmac_f32_e32 v17, -0.5, v45
	v_pk_add_f32 v[22:23], v[14:15], v[26:27]
	v_fmamk_f32 v36, v47, 0xbf5db3d7, v32
	v_fmac_f32_e32 v32, 0x3f5db3d7, v47
	v_pk_add_f32 v[34:35], v[34:35], v[42:43]
	v_fmamk_f32 v42, v46, 0x3f5db3d7, v17
	v_fmac_f32_e32 v17, 0xbf5db3d7, v46
	v_pk_add_f32 v[46:47], v[26:27], v[38:39]
	v_pk_add_f32 v[26:27], v[26:27], v[38:39] neg_lo:[0,1] neg_hi:[0,1]
	v_pk_fma_f32 v[14:15], v[46:47], 0.5, v[14:15] op_sel_hi:[1,0,1] neg_lo:[1,0,0] neg_hi:[1,0,0]
	v_pk_mul_f32 v[26:27], v[26:27], s[10:11] op_sel_hi:[1,0]
	v_pk_mul_f32 v[42:43], v[42:43], s[10:11] op_sel_hi:[0,1]
	v_pk_add_f32 v[22:23], v[22:23], v[38:39]
	v_pk_add_f32 v[38:39], v[14:15], v[26:27] op_sel:[0,1] op_sel_hi:[1,0] neg_lo:[0,1] neg_hi:[0,1]
	v_pk_add_f32 v[14:15], v[14:15], v[26:27] op_sel:[0,1] op_sel_hi:[1,0]
	v_pk_fma_f32 v[46:47], v[36:37], s[12:13], v[42:43] neg_lo:[0,0,1] neg_hi:[0,0,1]
	v_pk_fma_f32 v[36:37], v[36:37], s[12:13], v[42:43] op_sel_hi:[0,1,1]
	v_mov_b32_e32 v26, v38
	v_mov_b32_e32 v27, v15
	;; [unrolled: 1-line block ×3, first 2 shown]
	v_pk_add_f32 v[44:45], v[22:23], v[34:35]
	v_pk_add_f32 v[36:37], v[26:27], v[46:47]
	v_fmac_f32_e32 v33, -0.5, v29
	s_barrier
	ds_write2_b64 v58, v[44:45], v[36:37] offset1:6
	v_mov_b32_e32 v36, v17
	v_fmamk_f32 v20, v40, 0x3f5db3d7, v33
	v_fmac_f32_e32 v33, 0xbf5db3d7, v40
	v_pk_mul_f32 v[36:37], v[36:37], s[10:11] op_sel_hi:[0,1]
	v_pk_fma_f32 v[36:37], v[32:33], s[4:5], v[36:37] op_sel_hi:[0,1,1] neg_lo:[0,0,1] neg_hi:[0,0,1]
	v_mov_b32_e32 v15, v39
	v_pk_add_f32 v[38:39], v[14:15], v[36:37]
	v_pk_add_f32 v[22:23], v[22:23], v[34:35] neg_lo:[0,1] neg_hi:[0,1]
	v_mov_b32_e32 v0, v52
	ds_write2_b64 v58, v[38:39], v[22:23] offset0:12 offset1:18
	v_pk_add_f32 v[22:23], v[26:27], v[46:47] neg_lo:[0,1] neg_hi:[0,1]
	v_pk_add_f32 v[14:15], v[14:15], v[36:37] neg_lo:[0,1] neg_hi:[0,1]
	v_fmac_f32_e32 v0, -0.5, v28
	ds_write2_b64 v58, v[22:23], v[14:15] offset0:24 offset1:30
	v_pk_add_f32 v[14:15], v[50:51], v[54:55]
	v_pk_add_f32 v[22:23], v[50:51], v[54:55] neg_lo:[0,1] neg_hi:[0,1]
	v_fmamk_f32 v16, v41, 0xbf5db3d7, v0
	v_pk_fma_f32 v[14:15], v[14:15], 0.5, v[24:25] op_sel_hi:[1,0,1] neg_lo:[1,0,0] neg_hi:[1,0,0]
	v_pk_mul_f32 v[22:23], v[22:23], s[10:11] op_sel_hi:[1,0]
	v_pk_mul_f32 v[20:21], v[20:21], s[10:11] op_sel_hi:[0,1]
	v_pk_add_f32 v[28:29], v[24:25], v[50:51]
	v_pk_add_f32 v[24:25], v[14:15], v[22:23] op_sel:[0,1] op_sel_hi:[1,0] neg_lo:[0,1] neg_hi:[0,1]
	v_pk_add_f32 v[14:15], v[14:15], v[22:23] op_sel:[0,1] op_sel_hi:[1,0]
	v_pk_fma_f32 v[26:27], v[16:17], s[12:13], v[20:21] neg_lo:[0,0,1] neg_hi:[0,0,1]
	v_pk_fma_f32 v[16:17], v[16:17], s[12:13], v[20:21] op_sel_hi:[0,1,1]
	v_pk_add_f32 v[28:29], v[28:29], v[54:55]
	v_mov_b32_e32 v22, v24
	v_mov_b32_e32 v23, v15
	;; [unrolled: 1-line block ×3, first 2 shown]
	v_fmac_f32_e32 v0, 0x3f5db3d7, v41
	v_pk_add_f32 v[40:41], v[28:29], v[30:31]
	v_pk_add_f32 v[16:17], v[22:23], v[26:27]
	ds_write2_b64 v59, v[40:41], v[16:17] offset1:6
	v_mov_b32_e32 v16, v33
	v_pk_mul_f32 v[16:17], v[16:17], s[10:11] op_sel_hi:[0,1]
	v_pk_fma_f32 v[0:1], v[0:1], s[4:5], v[16:17] op_sel_hi:[0,1,1] neg_lo:[0,0,1] neg_hi:[0,0,1]
	v_mov_b32_e32 v15, v25
	v_pk_add_f32 v[16:17], v[14:15], v[0:1]
	v_pk_add_f32 v[20:21], v[28:29], v[30:31] neg_lo:[0,1] neg_hi:[0,1]
	ds_write2_b64 v59, v[16:17], v[20:21] offset0:12 offset1:18
	v_pk_add_f32 v[16:17], v[22:23], v[26:27] neg_lo:[0,1] neg_hi:[0,1]
	v_pk_add_f32 v[0:1], v[14:15], v[0:1] neg_lo:[0,1] neg_hi:[0,1]
	ds_write2_b64 v59, v[16:17], v[0:1] offset0:24 offset1:30
	v_mov_b32_e32 v0, 57
	v_mul_lo_u16_sdwa v1, v8, v0 dst_sel:DWORD dst_unused:UNUSED_PAD src0_sel:BYTE_0 src1_sel:DWORD
	v_lshrrev_b16_e32 v50, 11, v1
	v_mul_lo_u16_e32 v1, 36, v50
	v_sub_u16_e32 v51, v8, v1
	v_mul_u32_u24_sdwa v1, v51, v56 dst_sel:DWORD dst_unused:UNUSED_PAD src0_sel:BYTE_0 src1_sel:DWORD
	v_lshlrev_b32_e32 v32, 3, v1
	s_waitcnt lgkmcnt(0)
	s_barrier
	global_load_dwordx4 v[14:17], v32, s[8:9] offset:240
	v_mul_lo_u16_sdwa v0, v6, v0 dst_sel:DWORD dst_unused:UNUSED_PAD src0_sel:BYTE_0 src1_sel:DWORD
	v_lshrrev_b16_e32 v52, 11, v0
	v_mul_lo_u16_e32 v0, 36, v52
	v_sub_u16_e32 v53, v6, v0
	v_mul_u32_u24_sdwa v0, v53, v56 dst_sel:DWORD dst_unused:UNUSED_PAD src0_sel:BYTE_0 src1_sel:DWORD
	v_lshlrev_b32_e32 v33, 3, v0
	global_load_dwordx4 v[20:23], v33, s[8:9] offset:256
	global_load_dwordx4 v[24:27], v32, s[8:9] offset:256
	global_load_dwordx2 v[0:1], v32, s[8:9] offset:272
	global_load_dwordx4 v[28:31], v33, s[8:9] offset:240
	global_load_dwordx2 v[48:49], v33, s[8:9] offset:272
	ds_read2_b64 v[32:35], v11 offset0:68 offset1:176
	ds_read2_b64 v[36:39], v9 offset0:28 offset1:136
	;; [unrolled: 1-line block ×4, first 2 shown]
	v_mul_u32_u24_e32 v50, 0x6c0, v50
	v_lshlrev_b32_sdwa v51, v57, v51 dst_sel:DWORD dst_unused:UNUSED_PAD src0_sel:DWORD src1_sel:BYTE_0
	v_mul_u32_u24_e32 v52, 0x6c0, v52
	v_lshlrev_b32_sdwa v53, v57, v53 dst_sel:DWORD dst_unused:UNUSED_PAD src0_sel:DWORD src1_sel:BYTE_0
	v_add3_u32 v59, 0, v50, v51
	v_add3_u32 v58, 0, v52, v53
	s_waitcnt vmcnt(5) lgkmcnt(3)
	v_pk_mul_f32 v[50:51], v[32:33], v[14:15] op_sel:[0,1]
	s_nop 0
	v_pk_fma_f32 v[52:53], v[32:33], v[14:15], v[50:51] op_sel:[0,0,1] op_sel_hi:[1,0,0]
	v_pk_fma_f32 v[32:33], v[32:33], v[14:15], v[50:51] op_sel:[0,0,1] op_sel_hi:[1,0,0] neg_lo:[0,0,1] neg_hi:[0,0,1]
	v_mov_b32_e32 v14, v17
	s_waitcnt lgkmcnt(2)
	v_pk_mul_f32 v[14:15], v[36:37], v[14:15] op_sel_hi:[1,0]
	v_mov_b32_e32 v53, v33
	v_pk_fma_f32 v[50:51], v[36:37], v[16:17], v[14:15] op_sel:[0,0,1] op_sel_hi:[1,1,0]
	v_pk_fma_f32 v[14:15], v[36:37], v[16:17], v[14:15] op_sel:[0,0,1] op_sel_hi:[1,0,0] neg_lo:[0,0,1] neg_hi:[0,0,1]
	ds_read_b64 v[36:37], v10
	ds_read_b64 v[54:55], v18 offset:9504
	v_mov_b32_e32 v51, v15
	s_waitcnt vmcnt(4)
	v_pk_mul_f32 v[14:15], v[20:21], v[38:39] op_sel:[0,1]
	s_nop 0
	v_pk_fma_f32 v[56:57], v[20:21], v[38:39], v[14:15] op_sel:[0,0,1] op_sel_hi:[1,1,0]
	v_pk_fma_f32 v[20:21], v[20:21], v[38:39], v[14:15] op_sel:[0,0,1] op_sel_hi:[1,0,0] neg_lo:[1,0,0] neg_hi:[1,0,0]
	s_waitcnt lgkmcnt(3)
	v_pk_mul_f32 v[14:15], v[22:23], v[42:43] op_sel:[0,1]
	v_mov_b32_e32 v57, v21
	v_pk_fma_f32 v[38:39], v[22:23], v[42:43], v[14:15] op_sel:[0,0,1] op_sel_hi:[1,1,0]
	v_pk_fma_f32 v[22:23], v[22:23], v[42:43], v[14:15] op_sel:[0,0,1] op_sel_hi:[1,0,0] neg_lo:[1,0,0] neg_hi:[1,0,0]
	s_waitcnt vmcnt(3)
	v_pk_mul_f32 v[14:15], v[40:41], v[24:25] op_sel:[0,1]
	v_mov_b32_e32 v39, v23
	v_pk_fma_f32 v[42:43], v[40:41], v[24:25], v[14:15] op_sel:[0,0,1] op_sel_hi:[1,1,0]
	v_pk_fma_f32 v[24:25], v[40:41], v[24:25], v[14:15] op_sel:[0,0,1] op_sel_hi:[1,0,0] neg_lo:[0,0,1] neg_hi:[0,0,1]
	v_mov_b32_e32 v14, v27
	s_waitcnt lgkmcnt(2)
	v_pk_mul_f32 v[14:15], v[44:45], v[14:15] op_sel_hi:[1,0]
	v_mov_b32_e32 v43, v25
	v_pk_fma_f32 v[40:41], v[44:45], v[26:27], v[14:15] op_sel:[0,0,1] op_sel_hi:[1,1,0]
	v_pk_fma_f32 v[26:27], v[44:45], v[26:27], v[14:15] op_sel:[0,0,1] op_sel_hi:[1,0,0] neg_lo:[0,0,1] neg_hi:[0,0,1]
	ds_read2_b64 v[14:17], v18 offset1:216
	s_waitcnt vmcnt(2) lgkmcnt(1)
	v_pk_mul_f32 v[24:25], v[54:55], v[0:1] op_sel:[0,1]
	v_mov_b32_e32 v41, v27
	v_pk_fma_f32 v[26:27], v[54:55], v[0:1], v[24:25] op_sel:[0,0,1] op_sel_hi:[1,1,0]
	v_pk_fma_f32 v[0:1], v[54:55], v[0:1], v[24:25] op_sel:[0,0,1] op_sel_hi:[1,0,0] neg_lo:[0,0,1] neg_hi:[0,0,1]
	s_waitcnt vmcnt(1)
	v_pk_mul_f32 v[24:25], v[30:31], v[34:35] op_sel:[0,1]
	v_mov_b32_e32 v27, v1
	v_pk_fma_f32 v[44:45], v[30:31], v[34:35], v[24:25] op_sel:[0,0,1] op_sel_hi:[1,1,0]
	v_pk_fma_f32 v[24:25], v[30:31], v[34:35], v[24:25] op_sel:[0,0,1] op_sel_hi:[1,0,0] neg_lo:[1,0,0] neg_hi:[1,0,0]
	s_waitcnt lgkmcnt(0)
	v_pk_mul_f32 v[30:31], v[28:29], v[16:17] op_sel:[0,1]
	v_mov_b32_e32 v45, v25
	v_pk_fma_f32 v[34:35], v[28:29], v[16:17], v[30:31] op_sel:[0,0,1] op_sel_hi:[1,0,0]
	v_pk_fma_f32 v[16:17], v[28:29], v[16:17], v[30:31] op_sel:[0,0,1] op_sel_hi:[1,0,0] neg_lo:[1,0,0] neg_hi:[1,0,0]
	v_pk_add_f32 v[30:31], v[52:53], v[42:43]
	s_waitcnt vmcnt(0)
	v_pk_mul_f32 v[24:25], v[48:49], v[46:47] op_sel:[0,1]
	v_pk_add_f32 v[28:29], v[42:43], v[26:27]
	v_mov_b32_e32 v16, v52
	v_pk_add_f32 v[42:43], v[42:43], v[26:27] neg_lo:[0,1] neg_hi:[0,1]
	v_pk_add_f32 v[26:27], v[30:31], v[26:27]
	v_pk_fma_f32 v[30:31], v[48:49], v[46:47], v[24:25] op_sel:[0,0,1] op_sel_hi:[1,1,0]
	v_pk_fma_f32 v[24:25], v[48:49], v[46:47], v[24:25] op_sel:[0,0,1] op_sel_hi:[1,0,0] neg_lo:[1,0,0] neg_hi:[1,0,0]
	v_fmac_f32_e32 v16, -0.5, v28
	v_fmac_f32_e32 v33, -0.5, v29
	v_mov_b32_e32 v31, v25
	v_fmamk_f32 v20, v43, 0xbf5db3d7, v16
	v_fmac_f32_e32 v16, 0x3f5db3d7, v43
	v_fmamk_f32 v22, v42, 0x3f5db3d7, v33
	v_fmac_f32_e32 v33, 0xbf5db3d7, v42
	v_mov_b32_e32 v35, v17
	v_pk_add_f32 v[42:43], v[56:57], v[30:31]
	v_pk_add_f32 v[24:25], v[14:15], v[44:45]
	v_mov_b32_e32 v32, v34
	v_pk_add_f32 v[46:47], v[56:57], v[30:31] neg_lo:[0,1] neg_hi:[0,1]
	v_pk_add_f32 v[34:35], v[34:35], v[56:57]
	v_fmac_f32_e32 v17, -0.5, v43
	v_pk_add_f32 v[24:25], v[24:25], v[38:39]
	v_fmac_f32_e32 v32, -0.5, v42
	v_pk_add_f32 v[30:31], v[34:35], v[30:31]
	v_fmamk_f32 v34, v46, 0x3f5db3d7, v17
	v_pk_add_f32 v[48:49], v[44:45], v[38:39]
	v_pk_add_f32 v[38:39], v[44:45], v[38:39] neg_lo:[0,1] neg_hi:[0,1]
	v_fmamk_f32 v42, v47, 0xbf5db3d7, v32
	v_pk_fma_f32 v[14:15], v[48:49], 0.5, v[14:15] op_sel_hi:[1,0,1] neg_lo:[1,0,0] neg_hi:[1,0,0]
	v_pk_mul_f32 v[38:39], v[38:39], s[10:11] op_sel_hi:[1,0]
	v_pk_mul_f32 v[34:35], v[34:35], s[10:11] op_sel_hi:[0,1]
	v_pk_add_f32 v[44:45], v[14:15], v[38:39] op_sel:[0,1] op_sel_hi:[1,0] neg_lo:[0,1] neg_hi:[0,1]
	v_pk_add_f32 v[14:15], v[14:15], v[38:39] op_sel:[0,1] op_sel_hi:[1,0]
	v_pk_fma_f32 v[48:49], v[42:43], s[12:13], v[34:35] neg_lo:[0,0,1] neg_hi:[0,0,1]
	v_pk_fma_f32 v[34:35], v[42:43], s[12:13], v[34:35] op_sel_hi:[0,1,1]
	v_mov_b32_e32 v38, v44
	v_mov_b32_e32 v39, v15
	;; [unrolled: 1-line block ×3, first 2 shown]
	v_fmac_f32_e32 v32, 0x3f5db3d7, v47
	v_fmac_f32_e32 v17, 0xbf5db3d7, v46
	v_pk_add_f32 v[46:47], v[24:25], v[30:31]
	v_pk_add_f32 v[34:35], v[38:39], v[48:49]
	s_barrier
	ds_write2_b64 v58, v[46:47], v[34:35] offset1:36
	v_mov_b32_e32 v34, v17
	v_pk_mul_f32 v[34:35], v[34:35], s[10:11] op_sel_hi:[0,1]
	v_pk_fma_f32 v[34:35], v[32:33], s[4:5], v[34:35] op_sel_hi:[0,1,1] neg_lo:[0,0,1] neg_hi:[0,0,1]
	v_mov_b32_e32 v15, v45
	v_pk_add_f32 v[42:43], v[14:15], v[34:35]
	v_pk_add_f32 v[24:25], v[24:25], v[30:31] neg_lo:[0,1] neg_hi:[0,1]
	ds_write2_b64 v58, v[42:43], v[24:25] offset0:72 offset1:108
	v_pk_add_f32 v[24:25], v[38:39], v[48:49] neg_lo:[0,1] neg_hi:[0,1]
	v_pk_add_f32 v[14:15], v[14:15], v[34:35] neg_lo:[0,1] neg_hi:[0,1]
	ds_write2_b64 v58, v[24:25], v[14:15] offset0:144 offset1:180
	v_pk_add_f32 v[14:15], v[50:51], v[40:41]
	v_pk_add_f32 v[24:25], v[50:51], v[40:41] neg_lo:[0,1] neg_hi:[0,1]
	v_pk_fma_f32 v[14:15], v[14:15], 0.5, v[36:37] op_sel_hi:[1,0,1] neg_lo:[1,0,0] neg_hi:[1,0,0]
	v_pk_mul_f32 v[24:25], v[24:25], s[10:11] op_sel_hi:[1,0]
	v_pk_mul_f32 v[22:23], v[22:23], s[10:11] op_sel_hi:[0,1]
	v_pk_add_f32 v[0:1], v[36:37], v[50:51]
	v_pk_add_f32 v[30:31], v[14:15], v[24:25] op_sel:[0,1] op_sel_hi:[1,0] neg_lo:[0,1] neg_hi:[0,1]
	v_pk_add_f32 v[14:15], v[14:15], v[24:25] op_sel:[0,1] op_sel_hi:[1,0]
	v_pk_fma_f32 v[34:35], v[20:21], s[12:13], v[22:23] neg_lo:[0,0,1] neg_hi:[0,0,1]
	v_pk_fma_f32 v[20:21], v[20:21], s[12:13], v[22:23] op_sel_hi:[0,1,1]
	v_pk_add_f32 v[0:1], v[0:1], v[40:41]
	v_mov_b32_e32 v24, v30
	v_mov_b32_e32 v25, v15
	v_mov_b32_e32 v35, v21
	v_pk_add_f32 v[28:29], v[0:1], v[26:27]
	v_pk_add_f32 v[20:21], v[24:25], v[34:35]
	ds_write2_b64 v59, v[28:29], v[20:21] offset1:36
	v_mov_b32_e32 v20, v33
	v_pk_mul_f32 v[20:21], v[20:21], s[10:11] op_sel_hi:[0,1]
	v_pk_fma_f32 v[16:17], v[16:17], s[4:5], v[20:21] op_sel_hi:[0,1,1] neg_lo:[0,0,1] neg_hi:[0,0,1]
	v_mov_b32_e32 v15, v31
	v_pk_add_f32 v[20:21], v[14:15], v[16:17]
	v_pk_add_f32 v[0:1], v[0:1], v[26:27] neg_lo:[0,1] neg_hi:[0,1]
	ds_write2_b64 v59, v[20:21], v[0:1] offset0:72 offset1:108
	v_pk_add_f32 v[0:1], v[24:25], v[34:35] neg_lo:[0,1] neg_hi:[0,1]
	v_pk_add_f32 v[14:15], v[14:15], v[16:17] neg_lo:[0,1] neg_hi:[0,1]
	ds_write2_b64 v59, v[0:1], v[14:15] offset0:144 offset1:180
	v_mul_i32_i24_e32 v0, 5, v8
	v_mov_b32_e32 v1, 0
	v_lshl_add_u64 v[24:25], v[0:1], 3, s[8:9]
	s_waitcnt lgkmcnt(0)
	s_barrier
	global_load_dwordx4 v[14:17], v[24:25], off offset:1680
	global_load_dwordx4 v[20:23], v[24:25], off offset:1696
	global_load_dwordx2 v[48:49], v[24:25], off offset:1712
	v_mul_u32_u24_e32 v0, 5, v6
	v_lshlrev_b32_e32 v0, 3, v0
	global_load_dwordx4 v[24:27], v0, s[8:9] offset:1680
	global_load_dwordx4 v[28:31], v0, s[8:9] offset:1696
	global_load_dwordx2 v[50:51], v0, s[8:9] offset:1712
	ds_read2_b64 v[32:35], v11 offset0:68 offset1:176
	ds_read2_b64 v[36:39], v9 offset0:28 offset1:136
	;; [unrolled: 1-line block ×4, first 2 shown]
	ds_read_b64 v[52:53], v10
	ds_read_b64 v[54:55], v18 offset:9504
	v_add_u32_e32 v9, 0xd00, v18
	s_waitcnt vmcnt(5) lgkmcnt(5)
	v_pk_mul_f32 v[12:13], v[32:33], v[14:15] op_sel:[0,1]
	v_mov_b32_e32 v0, v17
	v_pk_fma_f32 v[56:57], v[32:33], v[14:15], v[12:13] op_sel:[0,0,1] op_sel_hi:[1,0,0]
	v_pk_fma_f32 v[32:33], v[32:33], v[14:15], v[12:13] op_sel:[0,0,1] op_sel_hi:[1,0,0] neg_lo:[0,0,1] neg_hi:[0,0,1]
	s_waitcnt lgkmcnt(4)
	v_pk_mul_f32 v[12:13], v[36:37], v[0:1] op_sel_hi:[1,0]
	s_waitcnt vmcnt(4)
	v_mov_b32_e32 v0, v23
	v_pk_fma_f32 v[58:59], v[36:37], v[16:17], v[12:13] op_sel:[0,0,1] op_sel_hi:[1,1,0]
	v_pk_fma_f32 v[12:13], v[36:37], v[16:17], v[12:13] op_sel:[0,0,1] op_sel_hi:[1,0,0] neg_lo:[0,0,1] neg_hi:[0,0,1]
	v_mov_b32_e32 v57, v33
	v_mov_b32_e32 v59, v13
	s_waitcnt lgkmcnt(3)
	v_pk_mul_f32 v[12:13], v[40:41], v[20:21] op_sel:[0,1]
	s_nop 0
	v_pk_fma_f32 v[16:17], v[40:41], v[20:21], v[12:13] op_sel:[0,0,1] op_sel_hi:[1,1,0]
	v_pk_fma_f32 v[20:21], v[40:41], v[20:21], v[12:13] op_sel:[0,0,1] op_sel_hi:[1,0,0] neg_lo:[0,0,1] neg_hi:[0,0,1]
	s_waitcnt lgkmcnt(2)
	v_pk_mul_f32 v[12:13], v[44:45], v[0:1] op_sel_hi:[1,0]
	v_mov_b32_e32 v17, v21
	v_pk_fma_f32 v[36:37], v[44:45], v[22:23], v[12:13] op_sel:[0,0,1] op_sel_hi:[1,1,0]
	v_pk_fma_f32 v[22:23], v[44:45], v[22:23], v[12:13] op_sel:[0,0,1] op_sel_hi:[1,0,0] neg_lo:[0,0,1] neg_hi:[0,0,1]
	ds_read2_b64 v[12:15], v18 offset1:216
	s_waitcnt vmcnt(3) lgkmcnt(1)
	v_pk_mul_f32 v[20:21], v[54:55], v[48:49] op_sel:[0,1]
	s_waitcnt vmcnt(2)
	v_pk_mul_f32 v[40:41], v[26:27], v[34:35] op_sel:[0,1]
	v_mov_b32_e32 v37, v23
	v_pk_fma_f32 v[22:23], v[54:55], v[48:49], v[20:21] op_sel:[0,0,1] op_sel_hi:[1,1,0]
	v_pk_fma_f32 v[20:21], v[54:55], v[48:49], v[20:21] op_sel:[0,0,1] op_sel_hi:[1,0,0] neg_lo:[0,0,1] neg_hi:[0,0,1]
	v_pk_fma_f32 v[44:45], v[26:27], v[34:35], v[40:41] op_sel:[0,0,1] op_sel_hi:[1,1,0]
	v_pk_fma_f32 v[26:27], v[26:27], v[34:35], v[40:41] op_sel:[0,0,1] op_sel_hi:[1,0,0] neg_lo:[1,0,0] neg_hi:[1,0,0]
	s_waitcnt lgkmcnt(0)
	v_pk_mul_f32 v[34:35], v[24:25], v[14:15] op_sel:[0,1]
	v_mov_b32_e32 v23, v21
	v_pk_fma_f32 v[40:41], v[24:25], v[14:15], v[34:35] op_sel:[0,0,1] op_sel_hi:[1,0,0]
	v_pk_fma_f32 v[14:15], v[24:25], v[14:15], v[34:35] op_sel:[0,0,1] op_sel_hi:[1,0,0] neg_lo:[1,0,0] neg_hi:[1,0,0]
	s_waitcnt vmcnt(1)
	v_pk_mul_f32 v[24:25], v[28:29], v[38:39] op_sel:[0,1]
	v_mov_b32_e32 v0, v56
	v_pk_fma_f32 v[34:35], v[28:29], v[38:39], v[24:25] op_sel:[0,0,1] op_sel_hi:[1,1,0]
	v_pk_fma_f32 v[24:25], v[28:29], v[38:39], v[24:25] op_sel:[0,0,1] op_sel_hi:[1,0,0] neg_lo:[1,0,0] neg_hi:[1,0,0]
	v_pk_add_f32 v[28:29], v[16:17], v[22:23]
	v_mov_b32_e32 v45, v27
	v_pk_mul_f32 v[26:27], v[30:31], v[42:43] op_sel:[0,1]
	v_fmac_f32_e32 v0, -0.5, v28
	v_fmac_f32_e32 v33, -0.5, v29
	v_pk_fma_f32 v[28:29], v[30:31], v[42:43], v[26:27] op_sel:[0,0,1] op_sel_hi:[1,1,0]
	v_pk_fma_f32 v[26:27], v[30:31], v[42:43], v[26:27] op_sel:[0,0,1] op_sel_hi:[1,0,0] neg_lo:[1,0,0] neg_hi:[1,0,0]
	v_pk_add_f32 v[38:39], v[56:57], v[16:17]
	v_mov_b32_e32 v29, v27
	s_waitcnt vmcnt(0)
	v_pk_mul_f32 v[26:27], v[50:51], v[46:47] op_sel:[0,1]
	v_mov_b32_e32 v35, v25
	v_pk_fma_f32 v[30:31], v[50:51], v[46:47], v[26:27] op_sel:[0,0,1] op_sel_hi:[1,1,0]
	v_pk_fma_f32 v[26:27], v[50:51], v[46:47], v[26:27] op_sel:[0,0,1] op_sel_hi:[1,0,0] neg_lo:[1,0,0] neg_hi:[1,0,0]
	v_pk_add_f32 v[16:17], v[16:17], v[22:23] neg_lo:[0,1] neg_hi:[0,1]
	v_mov_b32_e32 v31, v27
	v_pk_add_f32 v[22:23], v[38:39], v[22:23]
	v_mov_b32_e32 v41, v15
	v_pk_add_f32 v[38:39], v[34:35], v[30:31]
	;; [unrolled: 2-line block ×3, first 2 shown]
	v_fmac_f32_e32 v32, -0.5, v38
	v_pk_add_f32 v[42:43], v[34:35], v[30:31] neg_lo:[0,1] neg_hi:[0,1]
	v_pk_add_f32 v[34:35], v[40:41], v[34:35]
	v_fmac_f32_e32 v15, -0.5, v39
	v_pk_add_f32 v[26:27], v[26:27], v[28:29]
	v_fmamk_f32 v38, v43, 0xbf5db3d7, v32
	v_fmac_f32_e32 v32, 0x3f5db3d7, v43
	v_pk_add_f32 v[30:31], v[34:35], v[30:31]
	v_fmamk_f32 v34, v42, 0x3f5db3d7, v15
	v_fmac_f32_e32 v15, 0xbf5db3d7, v42
	v_pk_add_f32 v[42:43], v[44:45], v[28:29]
	v_pk_add_f32 v[28:29], v[44:45], v[28:29] neg_lo:[0,1] neg_hi:[0,1]
	v_pk_fma_f32 v[12:13], v[42:43], 0.5, v[12:13] op_sel_hi:[1,0,1] neg_lo:[1,0,0] neg_hi:[1,0,0]
	v_pk_mul_f32 v[28:29], v[28:29], s[10:11] op_sel_hi:[1,0]
	v_pk_mul_f32 v[34:35], v[34:35], s[10:11] op_sel_hi:[0,1]
	v_pk_add_f32 v[42:43], v[12:13], v[28:29] op_sel:[0,1] op_sel_hi:[1,0] neg_lo:[0,1] neg_hi:[0,1]
	v_pk_add_f32 v[12:13], v[12:13], v[28:29] op_sel:[0,1] op_sel_hi:[1,0]
	v_pk_fma_f32 v[44:45], v[38:39], s[12:13], v[34:35] neg_lo:[0,0,1] neg_hi:[0,0,1]
	v_pk_fma_f32 v[34:35], v[38:39], s[12:13], v[34:35] op_sel_hi:[0,1,1]
	v_mov_b32_e32 v28, v42
	v_mov_b32_e32 v29, v13
	;; [unrolled: 1-line block ×3, first 2 shown]
	v_pk_add_f32 v[40:41], v[26:27], v[30:31]
	v_pk_add_f32 v[34:35], v[28:29], v[44:45]
	s_barrier
	ds_write2_b64 v18, v[40:41], v[34:35] offset1:216
	v_mov_b32_e32 v34, v15
	v_fmamk_f32 v24, v16, 0x3f5db3d7, v33
	v_fmac_f32_e32 v33, 0xbf5db3d7, v16
	v_pk_mul_f32 v[34:35], v[34:35], s[10:11] op_sel_hi:[0,1]
	v_pk_fma_f32 v[34:35], v[32:33], s[4:5], v[34:35] op_sel_hi:[0,1,1] neg_lo:[0,0,1] neg_hi:[0,0,1]
	v_mov_b32_e32 v13, v43
	v_pk_add_f32 v[38:39], v[12:13], v[34:35]
	v_pk_add_f32 v[26:27], v[26:27], v[30:31] neg_lo:[0,1] neg_hi:[0,1]
	ds_write2_b64 v9, v[38:39], v[26:27] offset0:16 offset1:232
	v_pk_add_f32 v[26:27], v[28:29], v[44:45] neg_lo:[0,1] neg_hi:[0,1]
	v_pk_add_f32 v[12:13], v[12:13], v[34:35] neg_lo:[0,1] neg_hi:[0,1]
	v_add_u32_e32 v9, 0x1a00, v18
	ds_write2_b64 v9, v[26:27], v[12:13] offset0:32 offset1:248
	v_pk_add_f32 v[12:13], v[58:59], v[36:37]
	v_pk_add_f32 v[26:27], v[58:59], v[36:37] neg_lo:[0,1] neg_hi:[0,1]
	v_fmamk_f32 v14, v17, 0xbf5db3d7, v0
	v_pk_fma_f32 v[12:13], v[12:13], 0.5, v[52:53] op_sel_hi:[1,0,1] neg_lo:[1,0,0] neg_hi:[1,0,0]
	v_pk_mul_f32 v[26:27], v[26:27], s[10:11] op_sel_hi:[1,0]
	v_pk_mul_f32 v[24:25], v[24:25], s[10:11] op_sel_hi:[0,1]
	v_pk_add_f32 v[20:21], v[52:53], v[58:59]
	v_pk_add_f32 v[28:29], v[12:13], v[26:27] op_sel:[0,1] op_sel_hi:[1,0] neg_lo:[0,1] neg_hi:[0,1]
	v_pk_add_f32 v[12:13], v[12:13], v[26:27] op_sel:[0,1] op_sel_hi:[1,0]
	v_pk_fma_f32 v[30:31], v[14:15], s[12:13], v[24:25] neg_lo:[0,0,1] neg_hi:[0,0,1]
	v_pk_fma_f32 v[14:15], v[14:15], s[12:13], v[24:25] op_sel_hi:[0,1,1]
	v_pk_add_f32 v[20:21], v[20:21], v[36:37]
	v_mov_b32_e32 v26, v28
	v_mov_b32_e32 v27, v13
	;; [unrolled: 1-line block ×3, first 2 shown]
	v_fmac_f32_e32 v0, 0x3f5db3d7, v17
	v_pk_add_f32 v[16:17], v[20:21], v[22:23]
	v_pk_add_f32 v[14:15], v[26:27], v[30:31]
	ds_write2_b64 v10, v[16:17], v[14:15] offset1:216
	v_mov_b32_e32 v14, v33
	v_pk_mul_f32 v[14:15], v[14:15], s[10:11] op_sel_hi:[0,1]
	v_pk_fma_f32 v[14:15], v[0:1], s[4:5], v[14:15] op_sel_hi:[0,1,1] neg_lo:[0,0,1] neg_hi:[0,0,1]
	v_mov_b32_e32 v13, v29
	v_pk_add_f32 v[16:17], v[12:13], v[14:15]
	v_pk_add_f32 v[20:21], v[20:21], v[22:23] neg_lo:[0,1] neg_hi:[0,1]
	v_add_u32_e32 v0, 0xd00, v10
	ds_write2_b64 v0, v[16:17], v[20:21] offset0:16 offset1:232
	v_pk_add_f32 v[16:17], v[26:27], v[30:31] neg_lo:[0,1] neg_hi:[0,1]
	v_pk_add_f32 v[12:13], v[12:13], v[14:15] neg_lo:[0,1] neg_hi:[0,1]
	v_add_u32_e32 v0, 0x1a00, v10
	ds_write2_b64 v0, v[16:17], v[12:13] offset0:32 offset1:248
	s_waitcnt lgkmcnt(0)
	s_barrier
	ds_read_b64 v[16:17], v18
	s_add_u32 s4, s8, 0x2850
	s_addc_u32 s5, s9, 0
	v_sub_u32_e32 v0, 0, v7
                                        ; implicit-def: $vgpr13
                                        ; implicit-def: $vgpr10_vgpr11
                                        ; implicit-def: $vgpr14_vgpr15
	s_and_saveexec_b64 s[8:9], vcc
	s_xor_b64 s[8:9], exec, s[8:9]
	s_cbranch_execz .LBB0_15
; %bb.14:
	v_mov_b32_e32 v7, v1
	v_lshl_add_u64 v[10:11], v[6:7], 3, s[4:5]
	global_load_dwordx2 v[10:11], v[10:11], off
	ds_read_b64 v[12:13], v0 offset:10368
	v_mov_b32_e32 v15, 0.5
	v_mov_b32_e32 v20, v15
	s_waitcnt lgkmcnt(0)
	v_pk_add_f32 v[22:23], v[12:13], v[16:17]
	v_pk_add_f32 v[12:13], v[16:17], v[12:13] neg_lo:[0,1] neg_hi:[0,1]
	v_mov_b32_e32 v16, v23
	v_mov_b32_e32 v17, v12
	v_pk_mul_f32 v[16:17], v[16:17], 0.5 op_sel_hi:[1,0]
	s_waitcnt vmcnt(0)
	v_mov_b32_e32 v14, v11
	v_mov_b32_e32 v12, v17
	;; [unrolled: 1-line block ×4, first 2 shown]
	v_pk_mul_f32 v[12:13], v[14:15], v[12:13]
	v_pk_mul_f32 v[24:25], v[10:11], v[16:17] op_sel_hi:[0,1]
	v_pk_fma_f32 v[14:15], v[22:23], v[20:21], v[12:13]
	v_pk_fma_f32 v[20:21], v[22:23], v[20:21], v[12:13] neg_lo:[0,0,1] neg_hi:[0,0,1]
	v_pk_fma_f32 v[12:13], v[10:11], v[16:17], v[14:15] op_sel_hi:[0,1,1] neg_lo:[1,0,0] neg_hi:[1,0,0]
	v_pk_fma_f32 v[10:11], v[10:11], v[16:17], v[20:21] op_sel_hi:[0,1,1] neg_lo:[1,0,0] neg_hi:[1,0,0]
	v_add_f32_e32 v12, v14, v24
	v_mov_b64_e32 v[14:15], v[6:7]
                                        ; implicit-def: $vgpr16_vgpr17
.LBB0_15:
	s_or_saveexec_b64 s[8:9], s[8:9]
	v_mul_i32_i24_e32 v1, 0xffffffd8, v8
	s_xor_b64 exec, exec, s[8:9]
	s_cbranch_execz .LBB0_17
; %bb.16:
	s_waitcnt lgkmcnt(0)
	v_mov_b32_e32 v10, v17
	v_pk_add_f32 v[10:11], v[16:17], v[10:11] neg_lo:[0,1] neg_hi:[0,1]
	v_add_f32_e32 v12, v17, v16
	v_mov_b32_e32 v11, 0
	ds_read_b32 v7, v11 offset:5188
	v_mov_b64_e32 v[14:15], 0
	v_mov_b32_e32 v13, v11
	s_waitcnt lgkmcnt(0)
	v_xor_b32_e32 v7, 0x80000000, v7
	ds_write_b32 v11, v7 offset:5188
.LBB0_17:
	s_or_b64 exec, exec, s[8:9]
	v_mov_b32_e32 v9, 0
	s_waitcnt lgkmcnt(0)
	v_lshl_add_u64 v[16:17], v[8:9], 3, s[4:5]
	global_load_dwordx2 v[16:17], v[16:17], off
	v_lshl_add_u64 v[14:15], v[14:15], 3, s[4:5]
	global_load_dwordx2 v[20:21], v[14:15], off offset:1728
	global_load_dwordx2 v[22:23], v[14:15], off offset:2592
	;; [unrolled: 1-line block ×3, first 2 shown]
	s_movk_i32 s4, 0x1000
	v_add_co_u32_e32 v14, vcc, s4, v14
	ds_write_b64 v18, v[12:13]
	ds_write_b64 v0, v[10:11] offset:10368
	v_add_u32_e32 v1, v19, v1
	v_addc_co_u32_e32 v15, vcc, 0, v15, vcc
	ds_read_b64 v[12:13], v1
	ds_read_b64 v[26:27], v0 offset:9504
	global_load_dwordx2 v[14:15], v[14:15], off offset:224
	v_mov_b32_e32 v11, 0.5
	v_mov_b32_e32 v28, v11
	s_waitcnt lgkmcnt(0)
	v_pk_add_f32 v[30:31], v[12:13], v[26:27]
	v_pk_add_f32 v[12:13], v[12:13], v[26:27] neg_lo:[0,1] neg_hi:[0,1]
	v_mov_b32_e32 v26, v31
	v_mov_b32_e32 v27, v12
	v_pk_mul_f32 v[26:27], v[26:27], 0.5 op_sel_hi:[1,0]
	s_waitcnt vmcnt(4)
	v_mov_b32_e32 v29, v17
	v_mov_b32_e32 v31, v26
	;; [unrolled: 1-line block ×4, first 2 shown]
	v_pk_mul_f32 v[28:29], v[30:31], v[28:29]
	s_nop 0
	v_pk_fma_f32 v[30:31], v[10:11], v[12:13], v[28:29] neg_lo:[1,0,0] neg_hi:[1,0,0]
	v_pk_fma_f32 v[12:13], v[10:11], v[12:13], v[28:29]
	v_pk_fma_f32 v[28:29], v[16:17], v[26:27], v[30:31] op_sel_hi:[0,1,1] neg_lo:[1,0,0] neg_hi:[1,0,0]
	v_pk_fma_f32 v[30:31], v[16:17], v[26:27], v[12:13] op_sel_hi:[0,1,1]
	v_pk_fma_f32 v[12:13], v[16:17], v[26:27], v[12:13] op_sel_hi:[0,1,1] neg_lo:[1,0,0] neg_hi:[1,0,0]
	v_mov_b32_e32 v31, v13
	ds_write_b64 v1, v[30:31]
	ds_write_b64 v0, v[28:29] offset:9504
	ds_read_b64 v[12:13], v18 offset:1728
	ds_read_b64 v[16:17], v0 offset:8640
	v_mov_b32_e32 v26, v11
	s_waitcnt vmcnt(3)
	v_mov_b32_e32 v27, v21
	v_mov_b32_e32 v10, v21
	s_waitcnt lgkmcnt(0)
	v_pk_add_f32 v[28:29], v[12:13], v[16:17]
	v_pk_add_f32 v[12:13], v[12:13], v[16:17] neg_lo:[0,1] neg_hi:[0,1]
	v_mov_b32_e32 v16, v29
	v_mov_b32_e32 v17, v12
	v_pk_mul_f32 v[16:17], v[16:17], 0.5 op_sel_hi:[1,0]
	s_nop 0
	v_mov_b32_e32 v29, v16
	v_mov_b32_e32 v12, v17
	v_pk_mul_f32 v[26:27], v[28:29], v[26:27]
	s_nop 0
	v_pk_fma_f32 v[28:29], v[10:11], v[12:13], v[26:27] neg_lo:[1,0,0] neg_hi:[1,0,0]
	v_pk_fma_f32 v[12:13], v[10:11], v[12:13], v[26:27]
	v_pk_fma_f32 v[26:27], v[20:21], v[16:17], v[28:29] op_sel_hi:[0,1,1] neg_lo:[1,0,0] neg_hi:[1,0,0]
	v_pk_fma_f32 v[28:29], v[20:21], v[16:17], v[12:13] op_sel_hi:[0,1,1]
	v_pk_fma_f32 v[12:13], v[20:21], v[16:17], v[12:13] op_sel_hi:[0,1,1] neg_lo:[1,0,0] neg_hi:[1,0,0]
	v_mov_b32_e32 v29, v13
	ds_write_b64 v18, v[28:29] offset:1728
	ds_write_b64 v0, v[26:27] offset:8640
	ds_read_b64 v[12:13], v18 offset:2592
	ds_read_b64 v[16:17], v0 offset:7776
	v_mov_b32_e32 v20, v11
	s_waitcnt vmcnt(2)
	v_mov_b32_e32 v21, v23
	v_mov_b32_e32 v10, v23
	s_waitcnt lgkmcnt(0)
	v_pk_add_f32 v[26:27], v[12:13], v[16:17]
	v_pk_add_f32 v[12:13], v[12:13], v[16:17] neg_lo:[0,1] neg_hi:[0,1]
	v_mov_b32_e32 v16, v27
	v_mov_b32_e32 v17, v12
	v_pk_mul_f32 v[16:17], v[16:17], 0.5 op_sel_hi:[1,0]
	s_nop 0
	v_mov_b32_e32 v27, v16
	v_mov_b32_e32 v12, v17
	v_pk_mul_f32 v[20:21], v[26:27], v[20:21]
	s_nop 0
	v_pk_fma_f32 v[26:27], v[10:11], v[12:13], v[20:21] neg_lo:[1,0,0] neg_hi:[1,0,0]
	v_pk_fma_f32 v[12:13], v[10:11], v[12:13], v[20:21]
	v_pk_fma_f32 v[20:21], v[22:23], v[16:17], v[26:27] op_sel_hi:[0,1,1] neg_lo:[1,0,0] neg_hi:[1,0,0]
	v_pk_fma_f32 v[26:27], v[22:23], v[16:17], v[12:13] op_sel_hi:[0,1,1]
	v_pk_fma_f32 v[12:13], v[22:23], v[16:17], v[12:13] op_sel_hi:[0,1,1] neg_lo:[1,0,0] neg_hi:[1,0,0]
	v_mov_b32_e32 v27, v13
	ds_write_b64 v18, v[26:27] offset:2592
	;; [unrolled: 25-line block ×4, first 2 shown]
	ds_write_b64 v0, v[12:13] offset:6048
	s_waitcnt lgkmcnt(0)
	s_barrier
	s_and_saveexec_b64 s[4:5], s[0:1]
	s_cbranch_execz .LBB0_20
; %bb.18:
	v_lshl_add_u32 v14, v6, 3, 0
	v_mul_lo_u32 v7, s3, v4
	v_mul_lo_u32 v5, s2, v5
	v_mad_u64_u32 v[0:1], s[0:1], s2, v4, 0
	ds_read2_b64 v[10:13], v14 offset1:108
	v_add3_u32 v1, v1, v5, v7
	v_lshl_add_u64 v[0:1], v[0:1], 3, s[6:7]
	v_mov_b32_e32 v7, v9
	v_lshl_add_u64 v[0:1], v[2:3], 3, v[0:1]
	v_lshl_add_u64 v[2:3], v[6:7], 3, v[0:1]
	s_waitcnt lgkmcnt(0)
	global_store_dwordx2 v[2:3], v[10:11], off
	v_add_u32_e32 v2, 0x400, v14
	ds_read2_b64 v[2:5], v2 offset0:88 offset1:196
	v_add_u32_e32 v8, 0x6c, v6
	v_lshl_add_u64 v[10:11], v[8:9], 3, v[0:1]
	v_add_u32_e32 v8, 0xd8, v6
	global_store_dwordx2 v[10:11], v[12:13], off
	v_lshl_add_u64 v[10:11], v[8:9], 3, v[0:1]
	s_waitcnt lgkmcnt(0)
	global_store_dwordx2 v[10:11], v[2:3], off
	v_add_u32_e32 v2, 0xc00, v14
	ds_read2_b64 v[10:13], v2 offset0:48 offset1:156
	v_add_u32_e32 v8, 0x144, v6
	v_lshl_add_u64 v[2:3], v[8:9], 3, v[0:1]
	v_add_u32_e32 v8, 0x1b0, v6
	global_store_dwordx2 v[2:3], v[4:5], off
	;; [unrolled: 9-line block ×5, first 2 shown]
	v_lshl_add_u64 v[10:11], v[8:9], 3, v[0:1]
	v_add_u32_e32 v8, 0x4a4, v6
	s_movk_i32 s0, 0x6b
	s_waitcnt lgkmcnt(0)
	global_store_dwordx2 v[10:11], v[2:3], off
	v_lshl_add_u64 v[2:3], v[8:9], 3, v[0:1]
	v_cmp_eq_u32_e32 vcc, s0, v6
	global_store_dwordx2 v[2:3], v[4:5], off
	s_and_b64 exec, exec, vcc
	s_cbranch_execz .LBB0_20
; %bb.19:
	v_mov_b32_e32 v2, 0
	ds_read_b64 v[2:3], v2 offset:10368
	v_add_co_u32_e32 v0, vcc, 0x2000, v0
	s_nop 1
	v_addc_co_u32_e32 v1, vcc, 0, v1, vcc
	s_waitcnt lgkmcnt(0)
	global_store_dwordx2 v[0:1], v[2:3], off offset:2176
.LBB0_20:
	s_endpgm
	.section	.rodata,"a",@progbits
	.p2align	6, 0x0
	.amdhsa_kernel fft_rtc_back_len1296_factors_6_6_6_6_wgs_108_tpt_108_halfLds_sp_op_CI_CI_unitstride_sbrr_R2C_dirReg
		.amdhsa_group_segment_fixed_size 0
		.amdhsa_private_segment_fixed_size 0
		.amdhsa_kernarg_size 104
		.amdhsa_user_sgpr_count 2
		.amdhsa_user_sgpr_dispatch_ptr 0
		.amdhsa_user_sgpr_queue_ptr 0
		.amdhsa_user_sgpr_kernarg_segment_ptr 1
		.amdhsa_user_sgpr_dispatch_id 0
		.amdhsa_user_sgpr_kernarg_preload_length 0
		.amdhsa_user_sgpr_kernarg_preload_offset 0
		.amdhsa_user_sgpr_private_segment_size 0
		.amdhsa_uses_dynamic_stack 0
		.amdhsa_enable_private_segment 0
		.amdhsa_system_sgpr_workgroup_id_x 1
		.amdhsa_system_sgpr_workgroup_id_y 0
		.amdhsa_system_sgpr_workgroup_id_z 0
		.amdhsa_system_sgpr_workgroup_info 0
		.amdhsa_system_vgpr_workitem_id 0
		.amdhsa_next_free_vgpr 60
		.amdhsa_next_free_sgpr 28
		.amdhsa_accum_offset 60
		.amdhsa_reserve_vcc 1
		.amdhsa_float_round_mode_32 0
		.amdhsa_float_round_mode_16_64 0
		.amdhsa_float_denorm_mode_32 3
		.amdhsa_float_denorm_mode_16_64 3
		.amdhsa_dx10_clamp 1
		.amdhsa_ieee_mode 1
		.amdhsa_fp16_overflow 0
		.amdhsa_tg_split 0
		.amdhsa_exception_fp_ieee_invalid_op 0
		.amdhsa_exception_fp_denorm_src 0
		.amdhsa_exception_fp_ieee_div_zero 0
		.amdhsa_exception_fp_ieee_overflow 0
		.amdhsa_exception_fp_ieee_underflow 0
		.amdhsa_exception_fp_ieee_inexact 0
		.amdhsa_exception_int_div_zero 0
	.end_amdhsa_kernel
	.text
.Lfunc_end0:
	.size	fft_rtc_back_len1296_factors_6_6_6_6_wgs_108_tpt_108_halfLds_sp_op_CI_CI_unitstride_sbrr_R2C_dirReg, .Lfunc_end0-fft_rtc_back_len1296_factors_6_6_6_6_wgs_108_tpt_108_halfLds_sp_op_CI_CI_unitstride_sbrr_R2C_dirReg
                                        ; -- End function
	.section	.AMDGPU.csdata,"",@progbits
; Kernel info:
; codeLenInByte = 7304
; NumSgprs: 34
; NumVgprs: 60
; NumAgprs: 0
; TotalNumVgprs: 60
; ScratchSize: 0
; MemoryBound: 0
; FloatMode: 240
; IeeeMode: 1
; LDSByteSize: 0 bytes/workgroup (compile time only)
; SGPRBlocks: 4
; VGPRBlocks: 7
; NumSGPRsForWavesPerEU: 34
; NumVGPRsForWavesPerEU: 60
; AccumOffset: 60
; Occupancy: 8
; WaveLimiterHint : 1
; COMPUTE_PGM_RSRC2:SCRATCH_EN: 0
; COMPUTE_PGM_RSRC2:USER_SGPR: 2
; COMPUTE_PGM_RSRC2:TRAP_HANDLER: 0
; COMPUTE_PGM_RSRC2:TGID_X_EN: 1
; COMPUTE_PGM_RSRC2:TGID_Y_EN: 0
; COMPUTE_PGM_RSRC2:TGID_Z_EN: 0
; COMPUTE_PGM_RSRC2:TIDIG_COMP_CNT: 0
; COMPUTE_PGM_RSRC3_GFX90A:ACCUM_OFFSET: 14
; COMPUTE_PGM_RSRC3_GFX90A:TG_SPLIT: 0
	.text
	.p2alignl 6, 3212836864
	.fill 256, 4, 3212836864
	.type	__hip_cuid_e92dae1364fac80c,@object ; @__hip_cuid_e92dae1364fac80c
	.section	.bss,"aw",@nobits
	.globl	__hip_cuid_e92dae1364fac80c
__hip_cuid_e92dae1364fac80c:
	.byte	0                               ; 0x0
	.size	__hip_cuid_e92dae1364fac80c, 1

	.ident	"AMD clang version 19.0.0git (https://github.com/RadeonOpenCompute/llvm-project roc-6.4.0 25133 c7fe45cf4b819c5991fe208aaa96edf142730f1d)"
	.section	".note.GNU-stack","",@progbits
	.addrsig
	.addrsig_sym __hip_cuid_e92dae1364fac80c
	.amdgpu_metadata
---
amdhsa.kernels:
  - .agpr_count:     0
    .args:
      - .actual_access:  read_only
        .address_space:  global
        .offset:         0
        .size:           8
        .value_kind:     global_buffer
      - .offset:         8
        .size:           8
        .value_kind:     by_value
      - .actual_access:  read_only
        .address_space:  global
        .offset:         16
        .size:           8
        .value_kind:     global_buffer
      - .actual_access:  read_only
        .address_space:  global
        .offset:         24
        .size:           8
        .value_kind:     global_buffer
      - .actual_access:  read_only
        .address_space:  global
        .offset:         32
        .size:           8
        .value_kind:     global_buffer
      - .offset:         40
        .size:           8
        .value_kind:     by_value
      - .actual_access:  read_only
        .address_space:  global
        .offset:         48
        .size:           8
        .value_kind:     global_buffer
      - .actual_access:  read_only
        .address_space:  global
        .offset:         56
        .size:           8
        .value_kind:     global_buffer
      - .offset:         64
        .size:           4
        .value_kind:     by_value
      - .actual_access:  read_only
        .address_space:  global
        .offset:         72
        .size:           8
        .value_kind:     global_buffer
      - .actual_access:  read_only
        .address_space:  global
        .offset:         80
        .size:           8
        .value_kind:     global_buffer
      - .actual_access:  read_only
        .address_space:  global
        .offset:         88
        .size:           8
        .value_kind:     global_buffer
      - .actual_access:  write_only
        .address_space:  global
        .offset:         96
        .size:           8
        .value_kind:     global_buffer
    .group_segment_fixed_size: 0
    .kernarg_segment_align: 8
    .kernarg_segment_size: 104
    .language:       OpenCL C
    .language_version:
      - 2
      - 0
    .max_flat_workgroup_size: 108
    .name:           fft_rtc_back_len1296_factors_6_6_6_6_wgs_108_tpt_108_halfLds_sp_op_CI_CI_unitstride_sbrr_R2C_dirReg
    .private_segment_fixed_size: 0
    .sgpr_count:     34
    .sgpr_spill_count: 0
    .symbol:         fft_rtc_back_len1296_factors_6_6_6_6_wgs_108_tpt_108_halfLds_sp_op_CI_CI_unitstride_sbrr_R2C_dirReg.kd
    .uniform_work_group_size: 1
    .uses_dynamic_stack: false
    .vgpr_count:     60
    .vgpr_spill_count: 0
    .wavefront_size: 64
amdhsa.target:   amdgcn-amd-amdhsa--gfx950
amdhsa.version:
  - 1
  - 2
...

	.end_amdgpu_metadata
